;; amdgpu-corpus repo=zjin-lcf/HeCBench kind=compiled arch=gfx906 opt=O3
	.amdgcn_target "amdgcn-amd-amdhsa--gfx906"
	.amdhsa_code_object_version 6
	.text
	.protected	_Z9maxpool3dPKfPfiiiiiiiii ; -- Begin function _Z9maxpool3dPKfPfiiiiiiiii
	.globl	_Z9maxpool3dPKfPfiiiiiiiii
	.p2align	8
	.type	_Z9maxpool3dPKfPfiiiiiiiii,@function
_Z9maxpool3dPKfPfiiiiiiiii:             ; @_Z9maxpool3dPKfPfiiiiiiiii
; %bb.0:
	s_load_dwordx2 s[0:1], s[4:5], 0x44
	s_load_dword s2, s[4:5], 0x30
	s_load_dwordx8 s[12:19], s[4:5], 0x10
	s_waitcnt lgkmcnt(0)
	s_lshr_b32 s3, s0, 16
	s_and_b32 s0, s0, 0xffff
	s_and_b32 s1, s1, 0xffff
	s_mul_i32 s6, s6, s0
	s_mul_i32 s7, s7, s3
	v_add_u32_e32 v0, s6, v0
	v_add_u32_e32 v1, s7, v1
	s_mul_i32 s8, s8, s1
	v_add_u32_e32 v5, s8, v2
	v_cmp_gt_i32_e32 vcc, s19, v0
	v_cmp_gt_i32_e64 s[0:1], s2, v1
	s_and_b64 s[0:1], vcc, s[0:1]
	v_cmp_gt_i32_e32 vcc, s16, v5
	s_and_b64 s[0:1], s[0:1], vcc
	s_and_saveexec_b64 s[6:7], s[0:1]
	s_cbranch_execz .LBB0_9
; %bb.1:
	s_load_dwordx4 s[4:7], s[4:5], 0x0
	s_cmp_lt_i32 s15, 1
	s_cbranch_scc1 .LBB0_7
; %bb.2:
	v_mul_lo_u32 v2, v1, s13
	v_mul_lo_u32 v3, v0, s12
	s_cmp_gt_i32 s14, 0
	s_mov_b32 s3, 0
	v_mad_u64_u32 v[6:7], s[0:1], v5, s18, v[2:3]
	v_mad_u64_u32 v[2:3], s[0:1], s17, v6, v[3:4]
	s_cselect_b64 s[0:1], -1, 0
	v_cndmask_b32_e64 v3, 0, 1, s[0:1]
	v_mov_b32_e32 v6, 0
	v_cmp_ne_u32_e64 s[0:1], 1, v3
	s_branch .LBB0_4
.LBB0_3:                                ;   in Loop: Header=BB0_4 Depth=1
	s_add_i32 s3, s3, 1
	s_cmp_eq_u32 s3, s15
	v_add_u32_e32 v2, s17, v2
	s_cbranch_scc1 .LBB0_8
.LBB0_4:                                ; =>This Loop Header: Depth=1
                                        ;     Child Loop BB0_6 Depth 2
	s_and_b64 vcc, exec, s[0:1]
	s_cbranch_vccnz .LBB0_3
; %bb.5:                                ;   in Loop: Header=BB0_4 Depth=1
	v_ashrrev_i32_e32 v3, 31, v2
	v_lshlrev_b64 v[3:4], 2, v[2:3]
	s_waitcnt lgkmcnt(0)
	v_mov_b32_e32 v7, s5
	v_add_co_u32_e32 v3, vcc, s4, v3
	v_addc_co_u32_e32 v4, vcc, v7, v4, vcc
	s_mov_b32 s8, s14
.LBB0_6:                                ;   Parent Loop BB0_4 Depth=1
                                        ; =>  This Inner Loop Header: Depth=2
	global_load_dword v7, v[3:4], off
	v_max_f32_e32 v6, v6, v6
	s_add_i32 s8, s8, -1
	v_add_co_u32_e32 v3, vcc, 4, v3
	v_addc_co_u32_e32 v4, vcc, 0, v4, vcc
	s_cmp_eq_u32 s8, 0
	s_waitcnt vmcnt(0)
	v_max_f32_e32 v7, v7, v7
	v_max_f32_e32 v6, v6, v7
	s_cbranch_scc0 .LBB0_6
	s_branch .LBB0_3
.LBB0_7:
	v_mov_b32_e32 v6, 0
.LBB0_8:
	v_mad_u64_u32 v[1:2], s[0:1], v5, s2, v[1:2]
	s_waitcnt lgkmcnt(0)
	v_mov_b32_e32 v2, s7
	v_mad_u64_u32 v[0:1], s[0:1], v1, s19, v[0:1]
	v_ashrrev_i32_e32 v1, 31, v0
	v_lshlrev_b64 v[0:1], 2, v[0:1]
	v_add_co_u32_e32 v0, vcc, s6, v0
	v_addc_co_u32_e32 v1, vcc, v2, v1, vcc
	global_store_dword v[0:1], v6, off
.LBB0_9:
	s_endpgm
	.section	.rodata,"a",@progbits
	.p2align	6, 0x0
	.amdhsa_kernel _Z9maxpool3dPKfPfiiiiiiiii
		.amdhsa_group_segment_fixed_size 0
		.amdhsa_private_segment_fixed_size 0
		.amdhsa_kernarg_size 312
		.amdhsa_user_sgpr_count 6
		.amdhsa_user_sgpr_private_segment_buffer 1
		.amdhsa_user_sgpr_dispatch_ptr 0
		.amdhsa_user_sgpr_queue_ptr 0
		.amdhsa_user_sgpr_kernarg_segment_ptr 1
		.amdhsa_user_sgpr_dispatch_id 0
		.amdhsa_user_sgpr_flat_scratch_init 0
		.amdhsa_user_sgpr_private_segment_size 0
		.amdhsa_uses_dynamic_stack 0
		.amdhsa_system_sgpr_private_segment_wavefront_offset 0
		.amdhsa_system_sgpr_workgroup_id_x 1
		.amdhsa_system_sgpr_workgroup_id_y 1
		.amdhsa_system_sgpr_workgroup_id_z 1
		.amdhsa_system_sgpr_workgroup_info 0
		.amdhsa_system_vgpr_workitem_id 2
		.amdhsa_next_free_vgpr 8
		.amdhsa_next_free_sgpr 20
		.amdhsa_reserve_vcc 1
		.amdhsa_reserve_flat_scratch 0
		.amdhsa_float_round_mode_32 0
		.amdhsa_float_round_mode_16_64 0
		.amdhsa_float_denorm_mode_32 3
		.amdhsa_float_denorm_mode_16_64 3
		.amdhsa_dx10_clamp 1
		.amdhsa_ieee_mode 1
		.amdhsa_fp16_overflow 0
		.amdhsa_exception_fp_ieee_invalid_op 0
		.amdhsa_exception_fp_denorm_src 0
		.amdhsa_exception_fp_ieee_div_zero 0
		.amdhsa_exception_fp_ieee_overflow 0
		.amdhsa_exception_fp_ieee_underflow 0
		.amdhsa_exception_fp_ieee_inexact 0
		.amdhsa_exception_int_div_zero 0
	.end_amdhsa_kernel
	.text
.Lfunc_end0:
	.size	_Z9maxpool3dPKfPfiiiiiiiii, .Lfunc_end0-_Z9maxpool3dPKfPfiiiiiiiii
                                        ; -- End function
	.set _Z9maxpool3dPKfPfiiiiiiiii.num_vgpr, 8
	.set _Z9maxpool3dPKfPfiiiiiiiii.num_agpr, 0
	.set _Z9maxpool3dPKfPfiiiiiiiii.numbered_sgpr, 20
	.set _Z9maxpool3dPKfPfiiiiiiiii.num_named_barrier, 0
	.set _Z9maxpool3dPKfPfiiiiiiiii.private_seg_size, 0
	.set _Z9maxpool3dPKfPfiiiiiiiii.uses_vcc, 1
	.set _Z9maxpool3dPKfPfiiiiiiiii.uses_flat_scratch, 0
	.set _Z9maxpool3dPKfPfiiiiiiiii.has_dyn_sized_stack, 0
	.set _Z9maxpool3dPKfPfiiiiiiiii.has_recursion, 0
	.set _Z9maxpool3dPKfPfiiiiiiiii.has_indirect_call, 0
	.section	.AMDGPU.csdata,"",@progbits
; Kernel info:
; codeLenInByte = 352
; TotalNumSgprs: 24
; NumVgprs: 8
; ScratchSize: 0
; MemoryBound: 0
; FloatMode: 240
; IeeeMode: 1
; LDSByteSize: 0 bytes/workgroup (compile time only)
; SGPRBlocks: 2
; VGPRBlocks: 1
; NumSGPRsForWavesPerEU: 24
; NumVGPRsForWavesPerEU: 8
; Occupancy: 10
; WaveLimiterHint : 0
; COMPUTE_PGM_RSRC2:SCRATCH_EN: 0
; COMPUTE_PGM_RSRC2:USER_SGPR: 6
; COMPUTE_PGM_RSRC2:TRAP_HANDLER: 0
; COMPUTE_PGM_RSRC2:TGID_X_EN: 1
; COMPUTE_PGM_RSRC2:TGID_Y_EN: 1
; COMPUTE_PGM_RSRC2:TGID_Z_EN: 1
; COMPUTE_PGM_RSRC2:TIDIG_COMP_CNT: 2
	.section	.AMDGPU.gpr_maximums,"",@progbits
	.set amdgpu.max_num_vgpr, 0
	.set amdgpu.max_num_agpr, 0
	.set amdgpu.max_num_sgpr, 0
	.section	.AMDGPU.csdata,"",@progbits
	.type	__hip_cuid_7922e80f76172d7b,@object ; @__hip_cuid_7922e80f76172d7b
	.section	.bss,"aw",@nobits
	.globl	__hip_cuid_7922e80f76172d7b
__hip_cuid_7922e80f76172d7b:
	.byte	0                               ; 0x0
	.size	__hip_cuid_7922e80f76172d7b, 1

	.ident	"AMD clang version 22.0.0git (https://github.com/RadeonOpenCompute/llvm-project roc-7.2.4 26084 f58b06dce1f9c15707c5f808fd002e18c2accf7e)"
	.section	".note.GNU-stack","",@progbits
	.addrsig
	.addrsig_sym __hip_cuid_7922e80f76172d7b
	.amdgpu_metadata
---
amdhsa.kernels:
  - .args:
      - .address_space:  global
        .offset:         0
        .size:           8
        .value_kind:     global_buffer
      - .address_space:  global
        .offset:         8
        .size:           8
        .value_kind:     global_buffer
      - .offset:         16
        .size:           4
        .value_kind:     by_value
      - .offset:         20
        .size:           4
        .value_kind:     by_value
      - .offset:         24
        .size:           4
        .value_kind:     by_value
      - .offset:         28
        .size:           4
        .value_kind:     by_value
      - .offset:         32
        .size:           4
        .value_kind:     by_value
      - .offset:         36
        .size:           4
        .value_kind:     by_value
      - .offset:         40
        .size:           4
        .value_kind:     by_value
      - .offset:         44
        .size:           4
        .value_kind:     by_value
      - .offset:         48
        .size:           4
        .value_kind:     by_value
      - .offset:         56
        .size:           4
        .value_kind:     hidden_block_count_x
      - .offset:         60
        .size:           4
        .value_kind:     hidden_block_count_y
      - .offset:         64
        .size:           4
        .value_kind:     hidden_block_count_z
      - .offset:         68
        .size:           2
        .value_kind:     hidden_group_size_x
      - .offset:         70
        .size:           2
        .value_kind:     hidden_group_size_y
      - .offset:         72
        .size:           2
        .value_kind:     hidden_group_size_z
      - .offset:         74
        .size:           2
        .value_kind:     hidden_remainder_x
      - .offset:         76
        .size:           2
        .value_kind:     hidden_remainder_y
      - .offset:         78
        .size:           2
        .value_kind:     hidden_remainder_z
      - .offset:         96
        .size:           8
        .value_kind:     hidden_global_offset_x
      - .offset:         104
        .size:           8
        .value_kind:     hidden_global_offset_y
      - .offset:         112
        .size:           8
        .value_kind:     hidden_global_offset_z
      - .offset:         120
        .size:           2
        .value_kind:     hidden_grid_dims
    .group_segment_fixed_size: 0
    .kernarg_segment_align: 8
    .kernarg_segment_size: 312
    .language:       OpenCL C
    .language_version:
      - 2
      - 0
    .max_flat_workgroup_size: 1024
    .name:           _Z9maxpool3dPKfPfiiiiiiiii
    .private_segment_fixed_size: 0
    .sgpr_count:     24
    .sgpr_spill_count: 0
    .symbol:         _Z9maxpool3dPKfPfiiiiiiiii.kd
    .uniform_work_group_size: 1
    .uses_dynamic_stack: false
    .vgpr_count:     8
    .vgpr_spill_count: 0
    .wavefront_size: 64
amdhsa.target:   amdgcn-amd-amdhsa--gfx906
amdhsa.version:
  - 1
  - 2
...

	.end_amdgpu_metadata
